;; amdgpu-corpus repo=ROCm/rocFFT kind=compiled arch=gfx1201 opt=O3
	.text
	.amdgcn_target "amdgcn-amd-amdhsa--gfx1201"
	.amdhsa_code_object_version 6
	.protected	fft_rtc_fwd_len378_factors_6_3_3_7_wgs_126_tpt_126_half_ip_CI_sbrr_dirReg ; -- Begin function fft_rtc_fwd_len378_factors_6_3_3_7_wgs_126_tpt_126_half_ip_CI_sbrr_dirReg
	.globl	fft_rtc_fwd_len378_factors_6_3_3_7_wgs_126_tpt_126_half_ip_CI_sbrr_dirReg
	.p2align	8
	.type	fft_rtc_fwd_len378_factors_6_3_3_7_wgs_126_tpt_126_half_ip_CI_sbrr_dirReg,@function
fft_rtc_fwd_len378_factors_6_3_3_7_wgs_126_tpt_126_half_ip_CI_sbrr_dirReg: ; @fft_rtc_fwd_len378_factors_6_3_3_7_wgs_126_tpt_126_half_ip_CI_sbrr_dirReg
; %bb.0:
	s_clause 0x2
	s_load_b64 s[12:13], s[0:1], 0x18
	s_load_b128 s[4:7], s[0:1], 0x0
	s_load_b64 s[8:9], s[0:1], 0x50
	v_mul_u32_u24_e32 v1, 0x209, v0
	v_mov_b32_e32 v3, 0
	s_delay_alu instid0(VALU_DEP_2) | instskip(NEXT) | instid1(VALU_DEP_1)
	v_lshrrev_b32_e32 v1, 16, v1
	v_add_nc_u32_e32 v5, ttmp9, v1
	v_mov_b32_e32 v1, 0
	v_mov_b32_e32 v2, 0
	;; [unrolled: 1-line block ×3, first 2 shown]
	s_wait_kmcnt 0x0
	s_load_b64 s[10:11], s[12:13], 0x0
	v_cmp_lt_u64_e64 s2, s[6:7], 2
	s_delay_alu instid0(VALU_DEP_1)
	s_and_b32 vcc_lo, exec_lo, s2
	s_cbranch_vccnz .LBB0_8
; %bb.1:
	s_load_b64 s[2:3], s[0:1], 0x10
	v_mov_b32_e32 v1, 0
	v_mov_b32_e32 v2, 0
	s_add_nc_u64 s[14:15], s[12:13], 8
	s_mov_b64 s[16:17], 1
	s_wait_kmcnt 0x0
	s_add_nc_u64 s[18:19], s[2:3], 8
	s_mov_b32 s3, 0
.LBB0_2:                                ; =>This Inner Loop Header: Depth=1
	s_load_b64 s[20:21], s[18:19], 0x0
                                        ; implicit-def: $vgpr7_vgpr8
	s_mov_b32 s2, exec_lo
	s_wait_kmcnt 0x0
	v_or_b32_e32 v4, s21, v6
	s_delay_alu instid0(VALU_DEP_1)
	v_cmpx_ne_u64_e32 0, v[3:4]
	s_wait_alu 0xfffe
	s_xor_b32 s22, exec_lo, s2
	s_cbranch_execz .LBB0_4
; %bb.3:                                ;   in Loop: Header=BB0_2 Depth=1
	s_cvt_f32_u32 s2, s20
	s_cvt_f32_u32 s23, s21
	s_sub_nc_u64 s[26:27], 0, s[20:21]
	s_wait_alu 0xfffe
	s_delay_alu instid0(SALU_CYCLE_1) | instskip(SKIP_1) | instid1(SALU_CYCLE_2)
	s_fmamk_f32 s2, s23, 0x4f800000, s2
	s_wait_alu 0xfffe
	v_s_rcp_f32 s2, s2
	s_delay_alu instid0(TRANS32_DEP_1) | instskip(SKIP_1) | instid1(SALU_CYCLE_2)
	s_mul_f32 s2, s2, 0x5f7ffffc
	s_wait_alu 0xfffe
	s_mul_f32 s23, s2, 0x2f800000
	s_wait_alu 0xfffe
	s_delay_alu instid0(SALU_CYCLE_2) | instskip(SKIP_1) | instid1(SALU_CYCLE_2)
	s_trunc_f32 s23, s23
	s_wait_alu 0xfffe
	s_fmamk_f32 s2, s23, 0xcf800000, s2
	s_cvt_u32_f32 s25, s23
	s_wait_alu 0xfffe
	s_delay_alu instid0(SALU_CYCLE_1) | instskip(SKIP_1) | instid1(SALU_CYCLE_2)
	s_cvt_u32_f32 s24, s2
	s_wait_alu 0xfffe
	s_mul_u64 s[28:29], s[26:27], s[24:25]
	s_wait_alu 0xfffe
	s_mul_hi_u32 s31, s24, s29
	s_mul_i32 s30, s24, s29
	s_mul_hi_u32 s2, s24, s28
	s_mul_i32 s33, s25, s28
	s_wait_alu 0xfffe
	s_add_nc_u64 s[30:31], s[2:3], s[30:31]
	s_mul_hi_u32 s23, s25, s28
	s_mul_hi_u32 s34, s25, s29
	s_add_co_u32 s2, s30, s33
	s_wait_alu 0xfffe
	s_add_co_ci_u32 s2, s31, s23
	s_mul_i32 s28, s25, s29
	s_add_co_ci_u32 s29, s34, 0
	s_wait_alu 0xfffe
	s_add_nc_u64 s[28:29], s[2:3], s[28:29]
	s_wait_alu 0xfffe
	v_add_co_u32 v4, s2, s24, s28
	s_delay_alu instid0(VALU_DEP_1) | instskip(SKIP_1) | instid1(VALU_DEP_1)
	s_cmp_lg_u32 s2, 0
	s_add_co_ci_u32 s25, s25, s29
	v_readfirstlane_b32 s24, v4
	s_wait_alu 0xfffe
	s_delay_alu instid0(VALU_DEP_1)
	s_mul_u64 s[26:27], s[26:27], s[24:25]
	s_wait_alu 0xfffe
	s_mul_hi_u32 s29, s24, s27
	s_mul_i32 s28, s24, s27
	s_mul_hi_u32 s2, s24, s26
	s_mul_i32 s30, s25, s26
	s_wait_alu 0xfffe
	s_add_nc_u64 s[28:29], s[2:3], s[28:29]
	s_mul_hi_u32 s23, s25, s26
	s_mul_hi_u32 s24, s25, s27
	s_wait_alu 0xfffe
	s_add_co_u32 s2, s28, s30
	s_add_co_ci_u32 s2, s29, s23
	s_mul_i32 s26, s25, s27
	s_add_co_ci_u32 s27, s24, 0
	s_wait_alu 0xfffe
	s_add_nc_u64 s[26:27], s[2:3], s[26:27]
	s_wait_alu 0xfffe
	v_add_co_u32 v4, s2, v4, s26
	s_delay_alu instid0(VALU_DEP_1) | instskip(SKIP_1) | instid1(VALU_DEP_1)
	s_cmp_lg_u32 s2, 0
	s_add_co_ci_u32 s2, s25, s27
	v_mul_hi_u32 v13, v5, v4
	s_wait_alu 0xfffe
	v_mad_co_u64_u32 v[7:8], null, v5, s2, 0
	v_mad_co_u64_u32 v[9:10], null, v6, v4, 0
	;; [unrolled: 1-line block ×3, first 2 shown]
	s_delay_alu instid0(VALU_DEP_3) | instskip(SKIP_1) | instid1(VALU_DEP_4)
	v_add_co_u32 v4, vcc_lo, v13, v7
	s_wait_alu 0xfffd
	v_add_co_ci_u32_e32 v7, vcc_lo, 0, v8, vcc_lo
	s_delay_alu instid0(VALU_DEP_2) | instskip(SKIP_1) | instid1(VALU_DEP_2)
	v_add_co_u32 v4, vcc_lo, v4, v9
	s_wait_alu 0xfffd
	v_add_co_ci_u32_e32 v4, vcc_lo, v7, v10, vcc_lo
	s_wait_alu 0xfffd
	v_add_co_ci_u32_e32 v7, vcc_lo, 0, v12, vcc_lo
	s_delay_alu instid0(VALU_DEP_2) | instskip(SKIP_1) | instid1(VALU_DEP_2)
	v_add_co_u32 v4, vcc_lo, v4, v11
	s_wait_alu 0xfffd
	v_add_co_ci_u32_e32 v9, vcc_lo, 0, v7, vcc_lo
	s_delay_alu instid0(VALU_DEP_2) | instskip(SKIP_1) | instid1(VALU_DEP_3)
	v_mul_lo_u32 v10, s21, v4
	v_mad_co_u64_u32 v[7:8], null, s20, v4, 0
	v_mul_lo_u32 v11, s20, v9
	s_delay_alu instid0(VALU_DEP_2) | instskip(NEXT) | instid1(VALU_DEP_2)
	v_sub_co_u32 v7, vcc_lo, v5, v7
	v_add3_u32 v8, v8, v11, v10
	s_delay_alu instid0(VALU_DEP_1) | instskip(SKIP_1) | instid1(VALU_DEP_1)
	v_sub_nc_u32_e32 v10, v6, v8
	s_wait_alu 0xfffd
	v_subrev_co_ci_u32_e64 v10, s2, s21, v10, vcc_lo
	v_add_co_u32 v11, s2, v4, 2
	s_wait_alu 0xf1ff
	v_add_co_ci_u32_e64 v12, s2, 0, v9, s2
	v_sub_co_u32 v13, s2, v7, s20
	v_sub_co_ci_u32_e32 v8, vcc_lo, v6, v8, vcc_lo
	s_wait_alu 0xf1ff
	v_subrev_co_ci_u32_e64 v10, s2, 0, v10, s2
	s_delay_alu instid0(VALU_DEP_3) | instskip(NEXT) | instid1(VALU_DEP_3)
	v_cmp_le_u32_e32 vcc_lo, s20, v13
	v_cmp_eq_u32_e64 s2, s21, v8
	s_wait_alu 0xfffd
	v_cndmask_b32_e64 v13, 0, -1, vcc_lo
	v_cmp_le_u32_e32 vcc_lo, s21, v10
	s_wait_alu 0xfffd
	v_cndmask_b32_e64 v14, 0, -1, vcc_lo
	v_cmp_le_u32_e32 vcc_lo, s20, v7
	;; [unrolled: 3-line block ×3, first 2 shown]
	s_wait_alu 0xfffd
	v_cndmask_b32_e64 v15, 0, -1, vcc_lo
	v_cmp_eq_u32_e32 vcc_lo, s21, v10
	s_wait_alu 0xf1ff
	s_delay_alu instid0(VALU_DEP_2)
	v_cndmask_b32_e64 v7, v15, v7, s2
	s_wait_alu 0xfffd
	v_cndmask_b32_e32 v10, v14, v13, vcc_lo
	v_add_co_u32 v13, vcc_lo, v4, 1
	s_wait_alu 0xfffd
	v_add_co_ci_u32_e32 v14, vcc_lo, 0, v9, vcc_lo
	s_delay_alu instid0(VALU_DEP_3) | instskip(SKIP_2) | instid1(VALU_DEP_3)
	v_cmp_ne_u32_e32 vcc_lo, 0, v10
	s_wait_alu 0xfffd
	v_cndmask_b32_e32 v10, v13, v11, vcc_lo
	v_cndmask_b32_e32 v8, v14, v12, vcc_lo
	v_cmp_ne_u32_e32 vcc_lo, 0, v7
	s_wait_alu 0xfffd
	s_delay_alu instid0(VALU_DEP_2)
	v_dual_cndmask_b32 v7, v4, v10 :: v_dual_cndmask_b32 v8, v9, v8
.LBB0_4:                                ;   in Loop: Header=BB0_2 Depth=1
	s_wait_alu 0xfffe
	s_and_not1_saveexec_b32 s2, s22
	s_cbranch_execz .LBB0_6
; %bb.5:                                ;   in Loop: Header=BB0_2 Depth=1
	v_cvt_f32_u32_e32 v4, s20
	s_sub_co_i32 s22, 0, s20
	s_delay_alu instid0(VALU_DEP_1) | instskip(NEXT) | instid1(TRANS32_DEP_1)
	v_rcp_iflag_f32_e32 v4, v4
	v_mul_f32_e32 v4, 0x4f7ffffe, v4
	s_delay_alu instid0(VALU_DEP_1) | instskip(SKIP_1) | instid1(VALU_DEP_1)
	v_cvt_u32_f32_e32 v4, v4
	s_wait_alu 0xfffe
	v_mul_lo_u32 v7, s22, v4
	s_delay_alu instid0(VALU_DEP_1) | instskip(NEXT) | instid1(VALU_DEP_1)
	v_mul_hi_u32 v7, v4, v7
	v_add_nc_u32_e32 v4, v4, v7
	s_delay_alu instid0(VALU_DEP_1) | instskip(NEXT) | instid1(VALU_DEP_1)
	v_mul_hi_u32 v4, v5, v4
	v_mul_lo_u32 v7, v4, s20
	v_add_nc_u32_e32 v8, 1, v4
	s_delay_alu instid0(VALU_DEP_2) | instskip(NEXT) | instid1(VALU_DEP_1)
	v_sub_nc_u32_e32 v7, v5, v7
	v_subrev_nc_u32_e32 v9, s20, v7
	v_cmp_le_u32_e32 vcc_lo, s20, v7
	s_wait_alu 0xfffd
	s_delay_alu instid0(VALU_DEP_2) | instskip(NEXT) | instid1(VALU_DEP_1)
	v_dual_cndmask_b32 v7, v7, v9 :: v_dual_cndmask_b32 v4, v4, v8
	v_cmp_le_u32_e32 vcc_lo, s20, v7
	s_delay_alu instid0(VALU_DEP_2) | instskip(SKIP_1) | instid1(VALU_DEP_1)
	v_add_nc_u32_e32 v8, 1, v4
	s_wait_alu 0xfffd
	v_dual_cndmask_b32 v7, v4, v8 :: v_dual_mov_b32 v8, v3
.LBB0_6:                                ;   in Loop: Header=BB0_2 Depth=1
	s_wait_alu 0xfffe
	s_or_b32 exec_lo, exec_lo, s2
	s_load_b64 s[22:23], s[14:15], 0x0
	s_delay_alu instid0(VALU_DEP_1)
	v_mul_lo_u32 v4, v8, s20
	v_mul_lo_u32 v11, v7, s21
	v_mad_co_u64_u32 v[9:10], null, v7, s20, 0
	s_add_nc_u64 s[16:17], s[16:17], 1
	s_add_nc_u64 s[14:15], s[14:15], 8
	s_wait_alu 0xfffe
	v_cmp_ge_u64_e64 s2, s[16:17], s[6:7]
	s_add_nc_u64 s[18:19], s[18:19], 8
	s_delay_alu instid0(VALU_DEP_2) | instskip(NEXT) | instid1(VALU_DEP_3)
	v_add3_u32 v4, v10, v11, v4
	v_sub_co_u32 v5, vcc_lo, v5, v9
	s_wait_alu 0xfffd
	s_delay_alu instid0(VALU_DEP_2) | instskip(SKIP_3) | instid1(VALU_DEP_2)
	v_sub_co_ci_u32_e32 v4, vcc_lo, v6, v4, vcc_lo
	s_and_b32 vcc_lo, exec_lo, s2
	s_wait_kmcnt 0x0
	v_mul_lo_u32 v6, s23, v5
	v_mul_lo_u32 v4, s22, v4
	v_mad_co_u64_u32 v[1:2], null, s22, v5, v[1:2]
	s_delay_alu instid0(VALU_DEP_1)
	v_add3_u32 v2, v6, v2, v4
	s_wait_alu 0xfffe
	s_cbranch_vccnz .LBB0_9
; %bb.7:                                ;   in Loop: Header=BB0_2 Depth=1
	v_dual_mov_b32 v5, v7 :: v_dual_mov_b32 v6, v8
	s_branch .LBB0_2
.LBB0_8:
	v_dual_mov_b32 v8, v6 :: v_dual_mov_b32 v7, v5
.LBB0_9:
	s_lshl_b64 s[2:3], s[6:7], 3
	v_mul_hi_u32 v3, 0x2082083, v0
	s_wait_alu 0xfffe
	s_add_nc_u64 s[2:3], s[12:13], s[2:3]
                                        ; implicit-def: $vgpr6
	s_load_b64 s[2:3], s[2:3], 0x0
	s_load_b64 s[0:1], s[0:1], 0x20
	s_delay_alu instid0(VALU_DEP_1) | instskip(NEXT) | instid1(VALU_DEP_1)
	v_mul_u32_u24_e32 v3, 0x7e, v3
	v_sub_nc_u32_e32 v9, v0, v3
                                        ; implicit-def: $vgpr3
	s_wait_kmcnt 0x0
	v_mul_lo_u32 v4, s2, v8
	v_mul_lo_u32 v5, s3, v7
	v_mad_co_u64_u32 v[1:2], null, s2, v7, v[1:2]
	v_cmp_gt_u64_e32 vcc_lo, s[0:1], v[7:8]
	v_cmp_gt_u32_e64 s0, 63, v9
                                        ; implicit-def: $vgpr7
	s_delay_alu instid0(VALU_DEP_1) | instskip(NEXT) | instid1(VALU_DEP_3)
	s_and_b32 s1, vcc_lo, s0
	v_add3_u32 v2, v5, v2, v4
                                        ; implicit-def: $vgpr5
                                        ; implicit-def: $vgpr4
	s_delay_alu instid0(VALU_DEP_1)
	v_lshlrev_b64_e32 v[0:1], 2, v[1:2]
                                        ; implicit-def: $vgpr2
	s_wait_alu 0xfffe
	s_and_saveexec_b32 s2, s1
	s_cbranch_execz .LBB0_11
; %bb.10:
	v_add_nc_u32_e32 v12, 63, v9
	v_mad_co_u64_u32 v[2:3], null, s10, v9, 0
	v_add_co_u32 v19, s1, s8, v0
	s_delay_alu instid0(VALU_DEP_3) | instskip(SKIP_3) | instid1(VALU_DEP_3)
	v_mad_co_u64_u32 v[4:5], null, s10, v12, 0
	s_wait_alu 0xf1ff
	v_add_co_ci_u32_e64 v20, s1, s9, v1, s1
	v_add_nc_u32_e32 v21, 0x13b, v9
	v_mad_co_u64_u32 v[6:7], null, s11, v9, v[3:4]
	s_delay_alu instid0(VALU_DEP_4) | instskip(NEXT) | instid1(VALU_DEP_1)
	v_dual_mov_b32 v3, v5 :: v_dual_add_nc_u32 v14, 0x7e, v9
	v_mad_co_u64_u32 v[12:13], null, s11, v12, v[3:4]
	s_delay_alu instid0(VALU_DEP_3) | instskip(NEXT) | instid1(VALU_DEP_3)
	v_mov_b32_e32 v3, v6
	v_mad_co_u64_u32 v[7:8], null, s10, v14, 0
	v_add_nc_u32_e32 v15, 0xbd, v9
	v_add_nc_u32_e32 v18, 0xfc, v9
	s_delay_alu instid0(VALU_DEP_4) | instskip(NEXT) | instid1(VALU_DEP_4)
	v_lshlrev_b64_e32 v[2:3], 2, v[2:3]
	v_dual_mov_b32 v5, v12 :: v_dual_mov_b32 v6, v8
	s_delay_alu instid0(VALU_DEP_4) | instskip(NEXT) | instid1(VALU_DEP_2)
	v_mad_co_u64_u32 v[10:11], null, s10, v15, 0
	v_lshlrev_b64_e32 v[4:5], 2, v[4:5]
	s_delay_alu instid0(VALU_DEP_4) | instskip(NEXT) | instid1(VALU_DEP_4)
	v_add_co_u32 v2, s1, v19, v2
	v_mad_co_u64_u32 v[12:13], null, s11, v14, v[6:7]
	v_mad_co_u64_u32 v[13:14], null, s10, v18, 0
	v_mov_b32_e32 v6, v11
	s_wait_alu 0xf1ff
	v_add_co_ci_u32_e64 v3, s1, v20, v3, s1
	v_add_co_u32 v4, s1, v19, v4
	s_delay_alu instid0(VALU_DEP_3)
	v_mad_co_u64_u32 v[15:16], null, s11, v15, v[6:7]
	v_mad_co_u64_u32 v[16:17], null, s10, v21, 0
	v_mov_b32_e32 v6, v14
	v_mov_b32_e32 v8, v12
	s_wait_alu 0xf1ff
	v_add_co_ci_u32_e64 v5, s1, v20, v5, s1
	v_mov_b32_e32 v11, v15
	v_mad_co_u64_u32 v[14:15], null, s11, v18, v[6:7]
	v_lshlrev_b64_e32 v[7:8], 2, v[7:8]
	v_mov_b32_e32 v6, v17
	s_delay_alu instid0(VALU_DEP_4) | instskip(NEXT) | instid1(VALU_DEP_2)
	v_lshlrev_b64_e32 v[10:11], 2, v[10:11]
	v_mad_co_u64_u32 v[17:18], null, s11, v21, v[6:7]
	v_add_co_u32 v7, s1, v19, v7
	v_lshlrev_b64_e32 v[12:13], 2, v[13:14]
	s_wait_alu 0xf1ff
	v_add_co_ci_u32_e64 v8, s1, v20, v8, s1
	v_add_co_u32 v10, s1, v19, v10
	v_lshlrev_b64_e32 v[14:15], 2, v[16:17]
	s_wait_alu 0xf1ff
	v_add_co_ci_u32_e64 v11, s1, v20, v11, s1
	v_add_co_u32 v12, s1, v19, v12
	s_wait_alu 0xf1ff
	v_add_co_ci_u32_e64 v13, s1, v20, v13, s1
	v_add_co_u32 v14, s1, v19, v14
	s_wait_alu 0xf1ff
	v_add_co_ci_u32_e64 v15, s1, v20, v15, s1
	s_clause 0x5
	global_load_b32 v2, v[2:3], off
	global_load_b32 v6, v[4:5], off
	;; [unrolled: 1-line block ×6, first 2 shown]
.LBB0_11:
	s_wait_alu 0xfffe
	s_or_b32 exec_lo, exec_lo, s2
	s_wait_loadcnt 0x0
	v_pk_add_f16 v8, v4, v7
	v_pk_add_f16 v10, v7, v4 neg_lo:[0,1] neg_hi:[0,1]
	v_pk_add_f16 v11, v5, v3
	v_pk_add_f16 v12, v2, v5
	v_pk_add_f16 v5, v5, v3 neg_lo:[0,1] neg_hi:[0,1]
	v_pk_fma_f16 v8, v8, 0.5, v6 op_sel_hi:[1,0,1] neg_lo:[1,0,0] neg_hi:[1,0,0]
	v_pk_add_f16 v6, v6, v7
	v_pk_fma_f16 v11, v11, 0.5, v2 op_sel_hi:[1,0,1] neg_lo:[1,0,0] neg_hi:[1,0,0]
	v_pk_add_f16 v2, v12, v3
	v_pk_mul_f16 v5, 0x3aee, v5 op_sel_hi:[0,1]
	v_pk_fma_f16 v7, 0x3aee, v10, v8 op_sel:[0,0,1] op_sel_hi:[0,1,0]
	v_pk_fma_f16 v8, 0x3aee, v10, v8 op_sel:[0,0,1] op_sel_hi:[0,1,0] neg_lo:[0,1,0] neg_hi:[0,1,0]
	v_pk_add_f16 v6, v4, v6
	s_delay_alu instid0(VALU_DEP_4) | instskip(NEXT) | instid1(VALU_DEP_4)
	v_pk_add_f16 v10, v5, v11 op_sel:[1,0] op_sel_hi:[0,1]
	v_lshrrev_b32_e32 v3, 16, v7
	s_delay_alu instid0(VALU_DEP_4) | instskip(SKIP_1) | instid1(VALU_DEP_3)
	v_bfi_b32 v4, 0xffff, v7, v8
	v_pk_add_f16 v7, v11, v5 op_sel:[0,1] op_sel_hi:[1,0] neg_lo:[0,1] neg_hi:[0,1]
	v_mul_f16_e32 v11, 0.5, v3
	v_mul_f16_e32 v12, 0xbaee, v3
	s_delay_alu instid0(VALU_DEP_4) | instskip(NEXT) | instid1(VALU_DEP_4)
	v_pk_mul_f16 v3, v4, 0.5 op_sel_hi:[1,0]
	v_lshrrev_b32_e32 v5, 16, v7
	v_bfi_b32 v14, 0xffff, v7, v10
	v_fmac_f16_e32 v11, 0x3aee, v8
	v_fmac_f16_e32 v12, 0.5, v8
	v_pk_fma_f16 v13, 0xbaee3aee, v4, v3 op_sel:[0,0,1] op_sel_hi:[1,1,0] neg_lo:[0,0,1] neg_hi:[0,0,1]
	v_pk_add_f16 v3, v2, v6 neg_lo:[0,1] neg_hi:[0,1]
	s_delay_alu instid0(VALU_DEP_4) | instskip(NEXT) | instid1(VALU_DEP_4)
	v_sub_f16_e32 v4, v10, v11
	v_sub_f16_e32 v8, v5, v12
	s_delay_alu instid0(VALU_DEP_4)
	v_pk_add_f16 v5, v14, v13 neg_lo:[0,1] neg_hi:[0,1]
	s_and_saveexec_b32 s1, s0
	s_cbranch_execz .LBB0_13
; %bb.12:
	v_lshrrev_b32_e32 v15, 16, v13
	v_lshrrev_b32_e32 v14, 16, v14
	v_perm_b32 v12, v13, v12, 0x5040100
	v_mul_u32_u24_e32 v13, 6, v9
	v_add_f16_e32 v10, v10, v11
	v_pk_add_f16 v2, v2, v6
	v_add_f16_e32 v14, v14, v15
	v_pk_add_f16 v7, v7, v12 op_sel:[1,0] op_sel_hi:[0,1]
	v_lshl_add_u32 v11, v13, 2, 0
	s_delay_alu instid0(VALU_DEP_2)
	v_alignbit_b32 v12, v14, v7, 16
	v_pack_b32_f16 v7, v10, v7
	v_perm_b32 v10, v8, v4, 0x5040100
	ds_store_2addr_b32 v11, v7, v12 offset0:1 offset1:2
	ds_store_2addr_b32 v11, v3, v10 offset0:3 offset1:4
	ds_store_2addr_b32 v11, v2, v5 offset1:5
.LBB0_13:
	s_wait_alu 0xfffe
	s_or_b32 exec_lo, exec_lo, s1
	v_and_b32_e32 v17, 0xff, v9
	global_wb scope:SCOPE_SE
	s_wait_dscnt 0x0
	s_barrier_signal -1
	s_barrier_wait -1
	global_inv scope:SCOPE_SE
	v_mul_lo_u16 v2, 0xab, v17
	v_lshl_add_u32 v18, v9, 2, 0
	v_mul_lo_u16 v14, v17, 57
	v_cmp_gt_u32_e64 s0, 54, v9
	s_delay_alu instid0(VALU_DEP_4) | instskip(NEXT) | instid1(VALU_DEP_3)
	v_lshrrev_b16 v2, 10, v2
	v_lshrrev_b16 v16, 10, v14
	s_delay_alu instid0(VALU_DEP_2) | instskip(SKIP_1) | instid1(VALU_DEP_3)
	v_mul_lo_u16 v6, v2, 6
	v_and_b32_e32 v2, 0xffff, v2
	v_mul_lo_u16 v14, v16, 18
	v_and_b32_e32 v16, 0xffff, v16
	s_delay_alu instid0(VALU_DEP_4) | instskip(NEXT) | instid1(VALU_DEP_4)
	v_sub_nc_u16 v6, v9, v6
	v_mul_u32_u24_e32 v2, 0x48, v2
	s_delay_alu instid0(VALU_DEP_4) | instskip(NEXT) | instid1(VALU_DEP_3)
	v_sub_nc_u16 v14, v9, v14
	v_and_b32_e32 v12, 0xff, v6
	s_delay_alu instid0(VALU_DEP_2) | instskip(NEXT) | instid1(VALU_DEP_2)
	v_and_b32_e32 v25, 0xff, v14
	v_lshlrev_b32_e32 v6, 3, v12
	global_load_b64 v[6:7], v6, s[4:5]
	ds_load_2addr_b32 v[10:11], v18 offset1:126
	ds_load_b32 v13, v18 offset:1008
	global_wb scope:SCOPE_SE
	s_wait_loadcnt_dscnt 0x0
	s_barrier_signal -1
	s_barrier_wait -1
	global_inv scope:SCOPE_SE
	v_lshrrev_b32_e32 v15, 16, v11
	v_lshrrev_b32_e32 v19, 16, v13
	;; [unrolled: 1-line block ×5, first 2 shown]
	s_delay_alu instid0(VALU_DEP_2) | instskip(NEXT) | instid1(VALU_DEP_2)
	v_mul_f16_e32 v23, v20, v15
	v_mul_f16_e32 v24, v21, v19
	;; [unrolled: 1-line block ×4, first 2 shown]
	s_delay_alu instid0(VALU_DEP_4) | instskip(NEXT) | instid1(VALU_DEP_4)
	v_fma_f16 v6, v6, v11, -v23
	v_fma_f16 v13, v7, v13, -v24
	s_delay_alu instid0(VALU_DEP_4) | instskip(NEXT) | instid1(VALU_DEP_4)
	v_fmac_f16_e32 v15, v20, v11
	v_fmac_f16_e32 v21, v7, v19
	v_lshlrev_b32_e32 v7, 2, v12
	v_add_f16_e32 v20, v6, v10
	v_add_f16_e32 v12, v6, v13
	v_add_f16_e32 v14, v15, v22
	v_add_f16_e32 v19, v15, v21
	v_sub_f16_e32 v15, v15, v21
	v_sub_f16_e32 v6, v6, v13
	v_fma_f16 v10, -0.5, v12, v10
	v_add_f16_e32 v12, v14, v21
	v_fmac_f16_e32 v22, -0.5, v19
	v_add_f16_e32 v13, v20, v13
	v_lshlrev_b32_e32 v11, 3, v25
	v_fmamk_f16 v14, v15, 0x3aee, v10
	v_fmac_f16_e32 v10, 0xbaee, v15
	v_fmamk_f16 v15, v6, 0xbaee, v22
	v_fmac_f16_e32 v22, 0x3aee, v6
	v_add3_u32 v2, 0, v2, v7
	v_pack_b32_f16 v6, v13, v12
	v_lshrrev_b32_e32 v13, 16, v5
	v_pack_b32_f16 v7, v14, v15
	v_pack_b32_f16 v10, v10, v22
	ds_store_2addr_b32 v2, v6, v7 offset1:6
	ds_store_b32 v2, v10 offset:48
	global_wb scope:SCOPE_SE
	s_wait_dscnt 0x0
	s_barrier_signal -1
	s_barrier_wait -1
	global_inv scope:SCOPE_SE
	global_load_b64 v[6:7], v11, s[4:5] offset:48
	ds_load_2addr_b32 v[14:15], v18 offset1:126
	ds_load_b32 v2, v18 offset:1008
	v_lshrrev_b32_e32 v11, 16, v3
	global_wb scope:SCOPE_SE
	s_wait_loadcnt_dscnt 0x0
	s_barrier_signal -1
	s_barrier_wait -1
	global_inv scope:SCOPE_SE
	v_lshrrev_b32_e32 v10, 16, v15
	v_lshrrev_b32_e32 v19, 16, v2
	;; [unrolled: 1-line block ×4, first 2 shown]
	s_delay_alu instid0(VALU_DEP_2) | instskip(NEXT) | instid1(VALU_DEP_2)
	v_mul_f16_e32 v21, v20, v10
	v_mul_f16_e32 v22, v12, v19
	;; [unrolled: 1-line block ×4, first 2 shown]
	v_lshrrev_b32_e32 v12, 16, v14
	v_fma_f16 v6, v6, v15, -v21
	v_fma_f16 v21, v7, v2, -v22
	v_fmac_f16_e32 v10, v20, v15
	v_fmac_f16_e32 v23, v7, v19
	v_mul_u32_u24_e32 v15, 0xd8, v16
	v_add_f16_e32 v20, v6, v14
	v_add_f16_e32 v2, v6, v21
	;; [unrolled: 1-line block ×4, first 2 shown]
	v_sub_f16_e32 v22, v10, v23
	v_sub_f16_e32 v24, v6, v21
	v_fma_f16 v2, -0.5, v2, v14
	v_lshlrev_b32_e32 v16, 2, v25
	v_fmac_f16_e32 v12, -0.5, v19
	v_add_f16_e32 v10, v7, v23
	v_add_f16_e32 v6, v20, v21
	v_fmamk_f16 v7, v22, 0x3aee, v2
	v_fmac_f16_e32 v2, 0xbaee, v22
	v_fmamk_f16 v14, v24, 0xbaee, v12
	v_fmac_f16_e32 v12, 0x3aee, v24
	v_add3_u32 v15, 0, v15, v16
	v_pack_b32_f16 v16, v6, v10
	s_delay_alu instid0(VALU_DEP_4) | instskip(NEXT) | instid1(VALU_DEP_4)
	v_pack_b32_f16 v19, v7, v14
	v_pack_b32_f16 v20, v2, v12
	ds_store_2addr_b32 v15, v16, v19 offset1:18
	ds_store_b32 v15, v20 offset:144
	global_wb scope:SCOPE_SE
	s_wait_dscnt 0x0
	s_barrier_signal -1
	s_barrier_wait -1
	global_inv scope:SCOPE_SE
                                        ; implicit-def: $vgpr16
                                        ; implicit-def: $vgpr15
	s_and_saveexec_b32 s1, s0
	s_cbranch_execnz .LBB0_16
; %bb.14:
	s_wait_alu 0xfffe
	s_or_b32 exec_lo, exec_lo, s1
	s_and_b32 s0, vcc_lo, s0
	s_wait_alu 0xfffe
	s_and_saveexec_b32 s1, s0
	s_cbranch_execnz .LBB0_17
.LBB0_15:
	s_endpgm
.LBB0_16:
	v_add_nc_u32_e32 v4, 0x200, v18
	ds_load_2addr_b32 v[6:7], v18 offset1:54
	ds_load_2addr_b32 v[2:3], v18 offset0:108 offset1:162
	ds_load_2addr_b32 v[4:5], v4 offset0:88 offset1:142
	ds_load_b32 v15, v18 offset:1296
	s_wait_dscnt 0x3
	v_lshrrev_b32_e32 v10, 16, v6
	v_lshrrev_b32_e32 v14, 16, v7
	s_wait_dscnt 0x2
	v_lshrrev_b32_e32 v12, 16, v2
	v_lshrrev_b32_e32 v11, 16, v3
	;; [unrolled: 3-line block ×3, first 2 shown]
	s_wait_dscnt 0x0
	v_lshrrev_b32_e32 v16, 16, v15
	s_wait_alu 0xfffe
	s_or_b32 exec_lo, exec_lo, s1
	s_and_b32 s0, vcc_lo, s0
	s_wait_alu 0xfffe
	s_and_saveexec_b32 s1, s0
	s_cbranch_execz .LBB0_15
.LBB0_17:
	v_add_nc_u32_e32 v42, 0xd8, v9
	v_mul_lo_u16 v17, v17, 19
	v_mad_co_u64_u32 v[23:24], null, s10, v9, 0
	v_add_nc_u32_e32 v43, 0x10e, v9
	s_delay_alu instid0(VALU_DEP_4) | instskip(SKIP_4) | instid1(VALU_DEP_4)
	v_mad_co_u64_u32 v[31:32], null, s10, v42, 0
	v_add_nc_u32_e32 v41, 0xa2, v9
	v_lshrrev_b16 v17, 10, v17
	v_add_nc_u32_e32 v44, 0x144, v9
	v_mad_co_u64_u32 v[33:34], null, s10, v43, 0
	v_mad_co_u64_u32 v[29:30], null, s10, v41, 0
	v_add_nc_u32_e32 v39, 54, v9
	v_mul_lo_u16 v17, v17, 54
	v_mad_co_u64_u32 v[35:36], null, s10, v44, 0
	s_delay_alu instid0(VALU_DEP_3) | instskip(SKIP_1) | instid1(VALU_DEP_4)
	v_mad_co_u64_u32 v[25:26], null, s10, v39, 0
	v_add_nc_u32_e32 v40, 0x6c, v9
	v_sub_nc_u16 v17, v9, v17
	s_delay_alu instid0(VALU_DEP_3) | instskip(NEXT) | instid1(VALU_DEP_4)
	v_mad_co_u64_u32 v[37:38], null, s11, v9, v[24:25]
	v_mov_b32_e32 v9, v26
	s_delay_alu instid0(VALU_DEP_4) | instskip(NEXT) | instid1(VALU_DEP_4)
	v_mad_co_u64_u32 v[27:28], null, s10, v40, 0
	v_dual_mov_b32 v26, v30 :: v_dual_and_b32 v17, 0xff, v17
	s_delay_alu instid0(VALU_DEP_3)
	v_mad_co_u64_u32 v[38:39], null, s11, v39, v[9:10]
	v_mov_b32_e32 v30, v34
	v_add_co_u32 v9, vcc_lo, s8, v0
	v_mov_b32_e32 v24, v28
	v_mad_co_u64_u32 v[21:22], null, v17, 24, s[4:5]
	s_clause 0x1
	global_load_b128 v[17:20], v[21:22], off offset:192
	global_load_b64 v[21:22], v[21:22], off offset:208
	v_mad_co_u64_u32 v[39:40], null, s11, v40, v[24:25]
	v_mov_b32_e32 v28, v32
	v_mov_b32_e32 v24, v37
	v_mad_co_u64_u32 v[40:41], null, s11, v41, v[26:27]
	v_mov_b32_e32 v26, v38
	s_delay_alu instid0(VALU_DEP_4)
	v_mad_co_u64_u32 v[41:42], null, s11, v42, v[28:29]
	v_mov_b32_e32 v32, v36
	s_wait_alu 0xfffd
	v_add_co_ci_u32_e32 v37, vcc_lo, s9, v1, vcc_lo
	v_lshlrev_b64_e32 v[0:1], 2, v[23:24]
	v_mov_b32_e32 v28, v39
	v_mad_co_u64_u32 v[42:43], null, s11, v43, v[30:31]
	v_lshlrev_b64_e32 v[23:24], 2, v[25:26]
	v_mov_b32_e32 v30, v40
	v_mad_co_u64_u32 v[43:44], null, s11, v44, v[32:33]
	v_lshlrev_b64_e32 v[25:26], 2, v[27:28]
	v_add_co_u32 v0, vcc_lo, v9, v0
	v_mov_b32_e32 v32, v41
	s_wait_alu 0xfffd
	v_add_co_ci_u32_e32 v1, vcc_lo, v37, v1, vcc_lo
	v_lshlrev_b64_e32 v[27:28], 2, v[29:30]
	v_add_co_u32 v23, vcc_lo, v9, v23
	v_mov_b32_e32 v34, v42
	s_wait_alu 0xfffd
	v_add_co_ci_u32_e32 v24, vcc_lo, v37, v24, vcc_lo
	v_lshlrev_b64_e32 v[29:30], 2, v[31:32]
	v_add_co_u32 v25, vcc_lo, v9, v25
	v_mov_b32_e32 v36, v43
	s_wait_alu 0xfffd
	v_add_co_ci_u32_e32 v26, vcc_lo, v37, v26, vcc_lo
	v_lshlrev_b64_e32 v[31:32], 2, v[33:34]
	v_add_co_u32 v27, vcc_lo, v9, v27
	s_wait_alu 0xfffd
	v_add_co_ci_u32_e32 v28, vcc_lo, v37, v28, vcc_lo
	v_lshlrev_b64_e32 v[33:34], 2, v[35:36]
	v_add_co_u32 v29, vcc_lo, v9, v29
	s_wait_alu 0xfffd
	v_add_co_ci_u32_e32 v30, vcc_lo, v37, v30, vcc_lo
	v_add_co_u32 v31, vcc_lo, v9, v31
	s_wait_alu 0xfffd
	v_add_co_ci_u32_e32 v32, vcc_lo, v37, v32, vcc_lo
	;; [unrolled: 3-line block ×3, first 2 shown]
	s_wait_loadcnt 0x1
	v_lshrrev_b32_e32 v9, 16, v17
	v_lshrrev_b32_e32 v35, 16, v18
	s_wait_loadcnt 0x0
	v_lshrrev_b32_e32 v36, 16, v22
	v_lshrrev_b32_e32 v39, 16, v21
	;; [unrolled: 1-line block ×4, first 2 shown]
	v_mul_f16_e32 v40, v14, v9
	v_mul_f16_e32 v41, v16, v36
	;; [unrolled: 1-line block ×12, first 2 shown]
	v_fma_f16 v7, v7, v17, -v40
	v_fma_f16 v15, v15, v22, -v41
	;; [unrolled: 1-line block ×4, first 2 shown]
	v_fmac_f16_e32 v36, v16, v22
	v_fmac_f16_e32 v9, v14, v17
	v_fmac_f16_e32 v39, v13, v21
	v_fmac_f16_e32 v35, v12, v18
	v_fma_f16 v4, v4, v20, -v42
	v_fma_f16 v3, v3, v19, -v43
	v_fmac_f16_e32 v38, v11, v19
	v_fmac_f16_e32 v37, v8, v20
	v_sub_f16_e32 v8, v7, v15
	v_sub_f16_e32 v12, v2, v5
	v_add_f16_e32 v13, v9, v36
	v_add_f16_e32 v16, v35, v39
	v_add_f16_e32 v7, v7, v15
	v_add_f16_e32 v2, v2, v5
	v_sub_f16_e32 v11, v4, v3
	v_add_f16_e32 v14, v37, v38
	v_add_f16_e32 v3, v4, v3
	v_sub_f16_e32 v4, v9, v36
	v_sub_f16_e32 v5, v37, v38
	;; [unrolled: 1-line block ×3, first 2 shown]
	v_add_f16_e32 v20, v13, v16
	v_add_f16_e32 v35, v7, v2
	v_sub_f16_e32 v15, v8, v11
	v_sub_f16_e32 v17, v11, v12
	v_add_f16_e32 v11, v11, v12
	v_sub_f16_e32 v18, v13, v14
	v_sub_f16_e32 v19, v14, v16
	;; [unrolled: 1-line block ×6, first 2 shown]
	v_add_f16_e32 v5, v5, v9
	v_sub_f16_e32 v12, v12, v8
	v_sub_f16_e32 v2, v2, v7
	;; [unrolled: 1-line block ×3, first 2 shown]
	v_add_f16_e32 v14, v14, v20
	v_add_f16_e32 v3, v3, v35
	v_sub_f16_e32 v13, v16, v13
	v_mul_f16_e32 v9, 0xb846, v17
	v_mul_f16_e32 v16, 0x2b26, v19
	;; [unrolled: 1-line block ×5, first 2 shown]
	v_add_f16_e32 v4, v4, v5
	v_mul_f16_e32 v5, 0x3b00, v12
	v_mul_f16_e32 v22, 0x3b00, v7
	v_add_f16_e32 v10, v10, v14
	v_add_f16_e32 v6, v6, v3
	;; [unrolled: 1-line block ×3, first 2 shown]
	v_mul_f16_e32 v11, 0x3a52, v18
	v_fmamk_f16 v35, v15, 0x3574, v9
	v_fmamk_f16 v18, v18, 0x3a52, v16
	;; [unrolled: 1-line block ×4, first 2 shown]
	v_fma_f16 v5, v15, 0xb574, -v5
	v_fma_f16 v15, v2, 0xb9e0, -v17
	;; [unrolled: 1-line block ×5, first 2 shown]
	v_fmamk_f16 v12, v14, 0xbcab, v10
	v_fmamk_f16 v3, v3, 0xbcab, v6
	v_fma_f16 v11, v13, 0xb9e0, -v11
	v_fma_f16 v13, v13, 0x39e0, -v16
	;; [unrolled: 1-line block ×3, first 2 shown]
	v_fmac_f16_e32 v35, 0x370e, v8
	v_fmac_f16_e32 v37, 0x370e, v4
	;; [unrolled: 1-line block ×6, first 2 shown]
	v_pack_b32_f16 v4, v6, v10
	v_add_f16_e32 v6, v18, v12
	v_add_f16_e32 v8, v21, v3
	;; [unrolled: 1-line block ×6, first 2 shown]
	global_store_b32 v[0:1], v4, off
	v_add_f16_e32 v0, v35, v6
	v_sub_f16_e32 v1, v8, v37
	v_sub_f16_e32 v6, v6, v35
	v_add_f16_e32 v8, v37, v8
	v_add_f16_e32 v3, v5, v10
	v_sub_f16_e32 v5, v10, v5
	v_add_f16_e32 v10, v17, v11
	v_sub_f16_e32 v4, v12, v9
	;; [unrolled: 2-line block ×4, first 2 shown]
	v_pack_b32_f16 v6, v8, v6
	v_pack_b32_f16 v5, v10, v5
	;; [unrolled: 1-line block ×6, first 2 shown]
	s_clause 0x5
	global_store_b32 v[23:24], v6, off
	global_store_b32 v[25:26], v5, off
	;; [unrolled: 1-line block ×6, first 2 shown]
	s_nop 0
	s_sendmsg sendmsg(MSG_DEALLOC_VGPRS)
	s_endpgm
	.section	.rodata,"a",@progbits
	.p2align	6, 0x0
	.amdhsa_kernel fft_rtc_fwd_len378_factors_6_3_3_7_wgs_126_tpt_126_half_ip_CI_sbrr_dirReg
		.amdhsa_group_segment_fixed_size 0
		.amdhsa_private_segment_fixed_size 0
		.amdhsa_kernarg_size 88
		.amdhsa_user_sgpr_count 2
		.amdhsa_user_sgpr_dispatch_ptr 0
		.amdhsa_user_sgpr_queue_ptr 0
		.amdhsa_user_sgpr_kernarg_segment_ptr 1
		.amdhsa_user_sgpr_dispatch_id 0
		.amdhsa_user_sgpr_private_segment_size 0
		.amdhsa_wavefront_size32 1
		.amdhsa_uses_dynamic_stack 0
		.amdhsa_enable_private_segment 0
		.amdhsa_system_sgpr_workgroup_id_x 1
		.amdhsa_system_sgpr_workgroup_id_y 0
		.amdhsa_system_sgpr_workgroup_id_z 0
		.amdhsa_system_sgpr_workgroup_info 0
		.amdhsa_system_vgpr_workitem_id 0
		.amdhsa_next_free_vgpr 46
		.amdhsa_next_free_sgpr 35
		.amdhsa_reserve_vcc 1
		.amdhsa_float_round_mode_32 0
		.amdhsa_float_round_mode_16_64 0
		.amdhsa_float_denorm_mode_32 3
		.amdhsa_float_denorm_mode_16_64 3
		.amdhsa_fp16_overflow 0
		.amdhsa_workgroup_processor_mode 1
		.amdhsa_memory_ordered 1
		.amdhsa_forward_progress 0
		.amdhsa_round_robin_scheduling 0
		.amdhsa_exception_fp_ieee_invalid_op 0
		.amdhsa_exception_fp_denorm_src 0
		.amdhsa_exception_fp_ieee_div_zero 0
		.amdhsa_exception_fp_ieee_overflow 0
		.amdhsa_exception_fp_ieee_underflow 0
		.amdhsa_exception_fp_ieee_inexact 0
		.amdhsa_exception_int_div_zero 0
	.end_amdhsa_kernel
	.text
.Lfunc_end0:
	.size	fft_rtc_fwd_len378_factors_6_3_3_7_wgs_126_tpt_126_half_ip_CI_sbrr_dirReg, .Lfunc_end0-fft_rtc_fwd_len378_factors_6_3_3_7_wgs_126_tpt_126_half_ip_CI_sbrr_dirReg
                                        ; -- End function
	.section	.AMDGPU.csdata,"",@progbits
; Kernel info:
; codeLenInByte = 4328
; NumSgprs: 37
; NumVgprs: 46
; ScratchSize: 0
; MemoryBound: 0
; FloatMode: 240
; IeeeMode: 1
; LDSByteSize: 0 bytes/workgroup (compile time only)
; SGPRBlocks: 4
; VGPRBlocks: 5
; NumSGPRsForWavesPerEU: 37
; NumVGPRsForWavesPerEU: 46
; Occupancy: 16
; WaveLimiterHint : 1
; COMPUTE_PGM_RSRC2:SCRATCH_EN: 0
; COMPUTE_PGM_RSRC2:USER_SGPR: 2
; COMPUTE_PGM_RSRC2:TRAP_HANDLER: 0
; COMPUTE_PGM_RSRC2:TGID_X_EN: 1
; COMPUTE_PGM_RSRC2:TGID_Y_EN: 0
; COMPUTE_PGM_RSRC2:TGID_Z_EN: 0
; COMPUTE_PGM_RSRC2:TIDIG_COMP_CNT: 0
	.text
	.p2alignl 7, 3214868480
	.fill 96, 4, 3214868480
	.type	__hip_cuid_44bf62ff704deaf0,@object ; @__hip_cuid_44bf62ff704deaf0
	.section	.bss,"aw",@nobits
	.globl	__hip_cuid_44bf62ff704deaf0
__hip_cuid_44bf62ff704deaf0:
	.byte	0                               ; 0x0
	.size	__hip_cuid_44bf62ff704deaf0, 1

	.ident	"AMD clang version 19.0.0git (https://github.com/RadeonOpenCompute/llvm-project roc-6.4.0 25133 c7fe45cf4b819c5991fe208aaa96edf142730f1d)"
	.section	".note.GNU-stack","",@progbits
	.addrsig
	.addrsig_sym __hip_cuid_44bf62ff704deaf0
	.amdgpu_metadata
---
amdhsa.kernels:
  - .args:
      - .actual_access:  read_only
        .address_space:  global
        .offset:         0
        .size:           8
        .value_kind:     global_buffer
      - .offset:         8
        .size:           8
        .value_kind:     by_value
      - .actual_access:  read_only
        .address_space:  global
        .offset:         16
        .size:           8
        .value_kind:     global_buffer
      - .actual_access:  read_only
        .address_space:  global
        .offset:         24
        .size:           8
        .value_kind:     global_buffer
      - .offset:         32
        .size:           8
        .value_kind:     by_value
      - .actual_access:  read_only
        .address_space:  global
        .offset:         40
        .size:           8
        .value_kind:     global_buffer
      - .actual_access:  read_only
        .address_space:  global
        .offset:         48
        .size:           8
        .value_kind:     global_buffer
      - .offset:         56
        .size:           4
        .value_kind:     by_value
      - .actual_access:  read_only
        .address_space:  global
        .offset:         64
        .size:           8
        .value_kind:     global_buffer
      - .actual_access:  read_only
        .address_space:  global
        .offset:         72
        .size:           8
        .value_kind:     global_buffer
      - .address_space:  global
        .offset:         80
        .size:           8
        .value_kind:     global_buffer
    .group_segment_fixed_size: 0
    .kernarg_segment_align: 8
    .kernarg_segment_size: 88
    .language:       OpenCL C
    .language_version:
      - 2
      - 0
    .max_flat_workgroup_size: 126
    .name:           fft_rtc_fwd_len378_factors_6_3_3_7_wgs_126_tpt_126_half_ip_CI_sbrr_dirReg
    .private_segment_fixed_size: 0
    .sgpr_count:     37
    .sgpr_spill_count: 0
    .symbol:         fft_rtc_fwd_len378_factors_6_3_3_7_wgs_126_tpt_126_half_ip_CI_sbrr_dirReg.kd
    .uniform_work_group_size: 1
    .uses_dynamic_stack: false
    .vgpr_count:     46
    .vgpr_spill_count: 0
    .wavefront_size: 32
    .workgroup_processor_mode: 1
amdhsa.target:   amdgcn-amd-amdhsa--gfx1201
amdhsa.version:
  - 1
  - 2
...

	.end_amdgpu_metadata
